;; amdgpu-corpus repo=zjin-lcf/HeCBench kind=compiled arch=gfx1250 opt=O3
	.amdgcn_target "amdgcn-amd-amdhsa--gfx1250"
	.amdhsa_code_object_version 6
	.text
	.protected	_Z18sequence_aa_kernelbPKcS0_PKjS2_PsS3_S3_S3_S3_ssPKsS5_ ; -- Begin function _Z18sequence_aa_kernelbPKcS0_PKjS2_PsS3_S3_S3_S3_ssPKsS5_
	.globl	_Z18sequence_aa_kernelbPKcS0_PKjS2_PsS3_S3_S3_S3_ssPKsS5_
	.p2align	8
	.type	_Z18sequence_aa_kernelbPKcS0_PKjS2_PsS3_S3_S3_S3_ssPKsS5_,@function
_Z18sequence_aa_kernelbPKcS0_PKjS2_PsS3_S3_S3_S3_ssPKsS5_: ; @_Z18sequence_aa_kernelbPKcS0_PKjS2_PsS3_S3_S3_S3_ssPKsS5_
; %bb.0:
	s_load_b256 s[4:11], s[0:1], 0x8
	s_bfe_u32 s2, ttmp6, 0x4000c
	s_and_b32 s3, ttmp6, 15
	s_add_co_i32 s2, s2, 1
	s_getreg_b32 s12, hwreg(HW_REG_IB_STS2, 6, 4)
	s_mul_i32 s2, ttmp9, s2
	s_delay_alu instid0(SALU_CYCLE_1) | instskip(SKIP_3) | instid1(SALU_CYCLE_1)
	s_add_co_i32 s3, s3, s2
	s_cmp_eq_u32 s12, 0
	s_mov_b32 s2, 0
	s_cselect_b32 s12, ttmp9, s3
	s_cmp_lg_u32 s12, 0
	s_cbranch_scc0 .LBB0_69
; %bb.1:
	s_ashr_i32 s13, s12, 31
	s_delay_alu instid0(SALU_CYCLE_1)
	s_lshl_b64 s[14:15], s[12:13], 2
	s_wait_kmcnt 0x0
	s_add_nc_u64 s[16:17], s[8:9], s[14:15]
	s_add_nc_u64 s[14:15], s[10:11], s[14:15]
	s_add_nc_u64 s[16:17], s[16:17], -4
	s_add_nc_u64 s[14:15], s[14:15], -4
	s_load_b64 s[18:19], s[16:17], 0x0
	s_load_b64 s[20:21], s[14:15], 0x0
	s_wait_kmcnt 0x0
	s_sub_co_i32 s29, s19, s18
	s_sub_co_i32 s30, s21, s20
	s_mov_b32 s19, s2
	s_mov_b32 s21, s2
	s_add_nc_u64 s[22:23], s[4:5], s[18:19]
	s_add_nc_u64 s[24:25], s[6:7], s[20:21]
	s_and_not1_b32 vcc_lo, exec_lo, s2
	s_cbranch_vccnz .LBB0_3
.LBB0_2:
	s_wait_kmcnt 0x0
	s_load_b32 s29, s[8:9], 0x0
	s_load_b32 s30, s[10:11], 0x0
	s_mov_b64 s[24:25], s[6:7]
	s_mov_b64 s[22:23], s[4:5]
.LBB0_3:
	s_clause 0x1
	s_load_b64 s[14:15], s[0:1], 0x40
	s_load_b32 s2, s[0:1], 0x0
	s_wait_kmcnt 0x0
	s_load_b64 s[10:11], s[0:1], 0x30
	s_bitcmp1_b32 s2, 0
	s_cselect_b32 s2, -1, 0
	s_delay_alu instid0(SALU_CYCLE_1) | instskip(NEXT) | instid1(SALU_CYCLE_1)
	s_xor_b32 s26, s2, -1
	s_and_b32 vcc_lo, exec_lo, s26
	s_cbranch_vccnz .LBB0_5
; %bb.4:
	s_ashr_i32 s13, s12, 31
	s_delay_alu instid0(SALU_CYCLE_1)
	s_lshl_b64 s[4:5], s[12:13], 1
	s_wait_kmcnt 0x0
	s_add_nc_u64 s[6:7], s[10:11], s[4:5]
	s_add_nc_u64 s[4:5], s[14:15], s[4:5]
	s_load_i16 s29, s[6:7], 0x0
	s_load_i16 s30, s[4:5], 0x0
.LBB0_5:
	s_wait_xcnt 0x0
	s_load_b128 s[4:7], s[0:1], 0x58
	s_wait_kmcnt 0x0
	s_min_u32 s28, s29, s30
	s_delay_alu instid0(SALU_CYCLE_1)
	v_cmp_gt_u32_e64 s3, s28, v0
	s_and_saveexec_b32 s8, s3
	s_cbranch_execz .LBB0_8
; %bb.6:
	v_dual_mov_b32 v1, 0 :: v_dual_mov_b32 v2, v0
	s_mov_b32 s9, 0
.LBB0_7:                                ; =>This Inner Loop Header: Depth=1
	s_delay_alu instid0(VALU_DEP_1) | instskip(SKIP_4) | instid1(SALU_CYCLE_1)
	v_add_nc_u32_e32 v3, 0x1ec0, v2
	v_add_nc_u32_e32 v2, 32, v2
	ds_store_b8 v3, v1
	v_cmp_le_u32_e32 vcc_lo, s28, v2
	s_or_b32 s9, vcc_lo, s9
	s_and_not1_b32 exec_lo, exec_lo, s9
	s_cbranch_execnz .LBB0_7
.LBB0_8:
	s_or_b32 exec_lo, exec_lo, s8
	s_clause 0x2
	s_load_b64 s[18:19], s[0:1], 0x48
	s_load_b64 s[8:9], s[0:1], 0x28
	;; [unrolled: 1-line block ×3, first 2 shown]
	s_add_co_i32 s31, s28, 0x1ec0
	s_and_saveexec_b32 s13, s3
	s_cbranch_execz .LBB0_11
; %bb.9:
	v_dual_mov_b32 v1, 1 :: v_dual_mov_b32 v2, v0
	s_mov_b32 s20, 0
.LBB0_10:                               ; =>This Inner Loop Header: Depth=1
	s_delay_alu instid0(VALU_DEP_1) | instskip(SKIP_3) | instid1(SALU_CYCLE_1)
	v_dual_add_nc_u32 v3, s31, v2 :: v_dual_add_nc_u32 v2, 32, v2
	ds_store_b8 v3, v1
	v_cmp_le_u32_e32 vcc_lo, s28, v2
	s_or_b32 s20, vcc_lo, s20
	s_and_not1_b32 exec_lo, exec_lo, s20
	s_cbranch_execnz .LBB0_10
.LBB0_11:
	s_or_b32 exec_lo, exec_lo, s13
	s_add_co_i32 s31, s31, s28
	s_and_saveexec_b32 s13, s3
	s_cbranch_execz .LBB0_14
; %bb.12:
	v_dual_mov_b32 v1, 0 :: v_dual_mov_b32 v2, v0
	s_mov_b32 s20, 0
.LBB0_13:                               ; =>This Inner Loop Header: Depth=1
	s_delay_alu instid0(VALU_DEP_1) | instskip(SKIP_3) | instid1(SALU_CYCLE_1)
	v_dual_add_nc_u32 v3, s31, v2 :: v_dual_add_nc_u32 v2, 32, v2
	ds_store_b8 v3, v1
	v_cmp_le_u32_e32 vcc_lo, s28, v2
	s_or_b32 s20, vcc_lo, s20
	s_and_not1_b32 exec_lo, exec_lo, s20
	s_cbranch_execnz .LBB0_13
.LBB0_14:
	s_or_b32 exec_lo, exec_lo, s13
	s_cmp_ge_u32 s29, s30
	s_cselect_b32 s27, -1, 0
	s_delay_alu instid0(SALU_CYCLE_1)
	s_and_b32 vcc_lo, exec_lo, s27
	s_cbranch_vccz .LBB0_17
; %bb.15:
	v_cmp_gt_u32_e32 vcc_lo, s30, v0
	s_and_b32 s13, vcc_lo, exec_lo
	s_cbranch_execz .LBB0_18
; %bb.16:
	s_mov_b64 s[20:21], s[22:23]
	s_mov_b64 s[22:23], s[24:25]
	s_mov_b32 s24, s30
	v_mov_b32_e32 v1, 0
	s_and_saveexec_b32 s25, s13
	s_cbranch_execnz .LBB0_19
	s_branch .LBB0_20
.LBB0_17:
	s_mov_b32 s13, 0
.LBB0_18:
	v_cmp_gt_u32_e32 vcc_lo, s29, v0
	s_and_not1_b32 s13, s13, exec_lo
	s_mov_b64 s[20:21], s[24:25]
	s_mov_b32 s24, s29
	s_and_b32 s33, vcc_lo, exec_lo
	s_delay_alu instid0(SALU_CYCLE_1)
	s_or_b32 s13, s13, s33
	v_mov_b32_e32 v1, 0
	s_and_saveexec_b32 s25, s13
	s_cbranch_execz .LBB0_20
.LBB0_19:
	v_xad_u32 v1, v0, -1, s24
	s_delay_alu instid0(VALU_DEP_1)
	v_cndmask_b32_e64 v1, v0, v1, s2
	global_load_i8 v1, v1, s[22:23]
.LBB0_20:
	s_wait_xcnt 0x0
	s_or_b32 exec_lo, exec_lo, s25
	s_wait_loadcnt_dscnt 0x0
	s_barrier_signal -1
	s_barrier_wait -1
	s_load_b32 s13, s[0:1], 0x74
	s_mov_b32 s24, exec_lo
	s_wait_kmcnt 0x0
	s_and_b32 s13, s13, 0xffff
	v_cmpx_gt_u32_e32 0x240, v0
	s_cbranch_execz .LBB0_33
; %bb.21:
	s_and_b32 s22, s13, 0xffff
	v_cmp_gt_u32_e32 vcc_lo, 0x23d, v0
	s_cmp_eq_u32 s22, 1
	v_mov_b32_e32 v4, v0
	s_cselect_b32 s22, -1, 0
	s_delay_alu instid0(SALU_CYCLE_1)
	s_and_b32 s23, vcc_lo, s22
	s_mov_b32 s22, -1
	s_and_saveexec_b32 s25, s23
	s_cbranch_execz .LBB0_30
; %bb.22:
	v_dual_mov_b32 v7, 0 :: v_dual_sub_nc_u32 v2, 0x23c, v0
	s_mov_b32 s33, exec_lo
	s_delay_alu instid0(VALU_DEP_1) | instskip(NEXT) | instid1(VALU_DEP_1)
	v_lshrrev_b32_e32 v2, 2, v2
	v_add_nc_u32_e32 v5, 1, v2
	v_cmpx_gt_u32_e32 0x221, v0
	s_cbranch_execz .LBB0_26
; %bb.23:
	v_dual_mov_b32 v7, 0 :: v_dual_lshlrev_b32 v6, 1, v0
	s_delay_alu instid0(VALU_DEP_3)
	v_lshlrev_b32_e32 v4, 3, v5
	s_mov_b64 s[22:23], 0
	s_mov_b32 s34, 0
	s_mov_b32 s35, 0
	v_add_nc_u64_e32 v[2:3], s[4:5], v[6:7]
	v_or_b32_e32 v6, 0x1800, v6
	v_and_b32_e32 v4, 0xfc0, v4
.LBB0_24:                               ; =>This Inner Loop Header: Depth=1
	s_delay_alu instid0(VALU_DEP_3) | instskip(SKIP_2) | instid1(VALU_DEP_2)
	v_add_nc_u64_e32 v[24:25], s[22:23], v[2:3]
	s_add_nc_u64 s[22:23], s[22:23], 64
	s_add_co_i32 s35, s35, 32
	v_cmp_eq_u32_e32 vcc_lo, s22, v4
	v_mov_b32_e32 v7, s35
	s_clause 0x3
	global_load_b128 v[8:11], v[24:25], off
	global_load_b128 v[12:15], v[24:25], off offset:16
	global_load_b128 v[16:19], v[24:25], off offset:32
	;; [unrolled: 1-line block ×3, first 2 shown]
	s_or_b32 s34, vcc_lo, s34
	s_wait_loadcnt 0x3
	ds_store_b128 v6, v[8:11]
	s_wait_loadcnt 0x2
	ds_store_b128 v6, v[12:15] offset:16
	s_wait_loadcnt 0x1
	ds_store_b128 v6, v[16:19] offset:32
	;; [unrolled: 2-line block ×3, first 2 shown]
	v_add_nc_u32_e32 v6, 64, v6
	s_wait_xcnt 0x0
	s_and_not1_b32 exec_lo, exec_lo, s34
	s_cbranch_execnz .LBB0_24
; %bb.25:
	s_or_b32 exec_lo, exec_lo, s34
.LBB0_26:
	s_delay_alu instid0(SALU_CYCLE_1) | instskip(NEXT) | instid1(VALU_DEP_2)
	s_or_b32 exec_lo, exec_lo, s33
	v_and_b32_e32 v5, 7, v5
	s_mov_b32 s23, 0
	s_mov_b32 s22, exec_lo
	s_delay_alu instid0(VALU_DEP_1)
	v_cmpx_ne_u32_e32 0, v5
	s_cbranch_execz .LBB0_29
; %bb.27:
	v_dual_mov_b32 v3, 0 :: v_dual_add_nc_u32 v2, v0, v7
	v_lshlrev_b32_e32 v5, 3, v5
	s_delay_alu instid0(VALU_DEP_2) | instskip(NEXT) | instid1(VALU_DEP_3)
	v_lshl_add_u32 v4, v2, 1, 0x1800
	v_lshl_add_u64 v[2:3], v[2:3], 1, s[4:5]
.LBB0_28:                               ; =>This Inner Loop Header: Depth=1
	global_load_b64 v[6:7], v[2:3], off
	v_add_nc_u32_e32 v5, -8, v5
	s_wait_xcnt 0x0
	v_add_nc_u64_e32 v[2:3], 8, v[2:3]
	s_wait_loadcnt 0x0
	ds_store_b64 v4, v[6:7]
	v_add_nc_u32_e32 v4, 8, v4
	v_cmp_eq_u32_e32 vcc_lo, 0, v5
	s_or_b32 s23, vcc_lo, s23
	s_delay_alu instid0(SALU_CYCLE_1)
	s_and_not1_b32 exec_lo, exec_lo, s23
	s_cbranch_execnz .LBB0_28
.LBB0_29:
	s_or_b32 exec_lo, exec_lo, s22
	v_sub_nc_u32_e32 v2, 0x240, v0
	s_delay_alu instid0(VALU_DEP_1) | instskip(NEXT) | instid1(VALU_DEP_1)
	v_and_b32_e32 v3, 0x3fc, v2
	v_cmp_ne_u32_e32 vcc_lo, v2, v3
	v_add_nc_u32_e32 v4, v0, v3
	s_or_not1_b32 s22, vcc_lo, exec_lo
.LBB0_30:
	s_or_b32 exec_lo, exec_lo, s25
	s_delay_alu instid0(SALU_CYCLE_1)
	s_and_b32 exec_lo, exec_lo, s22
	s_cbranch_execz .LBB0_33
; %bb.31:
	v_dual_mov_b32 v7, 0 :: v_dual_lshlrev_b32 v6, 1, v4
	s_delay_alu instid0(VALU_DEP_1) | instskip(NEXT) | instid1(VALU_DEP_2)
	v_add_nc_u32_e32 v5, 0x1800, v6
	v_add_nc_u64_e32 v[2:3], s[4:5], v[6:7]
	s_mov_b32 s5, 0
	s_lshl_b32 s4, s13, 1
	s_mov_b32 s22, s5
.LBB0_32:                               ; =>This Inner Loop Header: Depth=1
	global_load_u16 v6, v[2:3], off
	v_add_nc_u32_e32 v4, s13, v4
	s_wait_xcnt 0x0
	v_add_nc_u64_e32 v[2:3], s[4:5], v[2:3]
	s_wait_loadcnt 0x0
	ds_store_b16 v5, v6
	v_add_nc_u32_e32 v5, s4, v5
	v_cmp_lt_u32_e32 vcc_lo, 0x23f, v4
	s_or_b32 s22, vcc_lo, s22
	s_delay_alu instid0(SALU_CYCLE_1)
	s_and_not1_b32 exec_lo, exec_lo, s22
	s_cbranch_execnz .LBB0_32
.LBB0_33:
	s_or_b32 exec_lo, exec_lo, s24
	s_delay_alu instid0(SALU_CYCLE_1)
	s_mov_b32 s22, exec_lo
	v_cmpx_gt_u32_e32 0x5b, v0
	s_cbranch_execz .LBB0_46
; %bb.34:
	s_and_b32 s4, s13, 0xffff
	v_cmp_gt_u32_e32 vcc_lo, 0x58, v0
	s_cmp_eq_u32 s4, 1
	v_mov_b32_e32 v4, v0
	s_cselect_b32 s4, -1, 0
	s_delay_alu instid0(SALU_CYCLE_1)
	s_and_b32 s5, vcc_lo, s4
	s_mov_b32 s4, -1
	s_and_saveexec_b32 s23, s5
	s_cbranch_execz .LBB0_43
; %bb.35:
	v_dual_mov_b32 v7, 0 :: v_dual_sub_nc_u32 v2, 0x57, v0
	s_mov_b32 s24, exec_lo
	s_delay_alu instid0(VALU_DEP_1) | instskip(NEXT) | instid1(VALU_DEP_1)
	v_lshrrev_b32_e32 v2, 2, v2
	v_add_nc_u32_e32 v5, 1, v2
	v_cmpx_gt_u32_e32 60, v0
	s_cbranch_execz .LBB0_39
; %bb.36:
	v_dual_mov_b32 v7, 0 :: v_dual_lshlrev_b32 v6, 1, v0
	s_delay_alu instid0(VALU_DEP_3)
	v_lshlrev_b32_e32 v4, 3, v5
	s_mov_b64 s[4:5], 0
	s_mov_b32 s25, 0
	s_mov_b32 s33, 0
	v_add_nc_u64_e32 v[2:3], s[6:7], v[6:7]
	v_add_nc_u32_e32 v6, 0x1c80, v6
	v_and_b32_e32 v4, 0x1c0, v4
.LBB0_37:                               ; =>This Inner Loop Header: Depth=1
	s_delay_alu instid0(VALU_DEP_3) | instskip(SKIP_2) | instid1(VALU_DEP_2)
	v_add_nc_u64_e32 v[24:25], s[4:5], v[2:3]
	s_add_nc_u64 s[4:5], s[4:5], 64
	s_add_co_i32 s33, s33, 32
	v_cmp_eq_u32_e32 vcc_lo, s4, v4
	v_mov_b32_e32 v7, s33
	s_clause 0x3
	global_load_b128 v[8:11], v[24:25], off
	global_load_b128 v[12:15], v[24:25], off offset:16
	global_load_b128 v[16:19], v[24:25], off offset:32
	;; [unrolled: 1-line block ×3, first 2 shown]
	s_or_b32 s25, vcc_lo, s25
	s_wait_loadcnt 0x3
	ds_store_b128 v6, v[8:11]
	s_wait_loadcnt 0x2
	ds_store_b128 v6, v[12:15] offset:16
	s_wait_loadcnt 0x1
	ds_store_b128 v6, v[16:19] offset:32
	;; [unrolled: 2-line block ×3, first 2 shown]
	v_add_nc_u32_e32 v6, 64, v6
	s_wait_xcnt 0x0
	s_and_not1_b32 exec_lo, exec_lo, s25
	s_cbranch_execnz .LBB0_37
; %bb.38:
	s_or_b32 exec_lo, exec_lo, s25
.LBB0_39:
	s_delay_alu instid0(SALU_CYCLE_1) | instskip(NEXT) | instid1(VALU_DEP_2)
	s_or_b32 exec_lo, exec_lo, s24
	v_and_b32_e32 v5, 7, v5
	s_mov_b32 s5, 0
	s_mov_b32 s4, exec_lo
	s_delay_alu instid0(VALU_DEP_1)
	v_cmpx_ne_u32_e32 0, v5
	s_cbranch_execz .LBB0_42
; %bb.40:
	v_dual_mov_b32 v3, 0 :: v_dual_add_nc_u32 v2, v0, v7
	v_lshlrev_b32_e32 v5, 3, v5
	s_delay_alu instid0(VALU_DEP_2) | instskip(NEXT) | instid1(VALU_DEP_3)
	v_lshl_add_u32 v4, v2, 1, 0x1c80
	v_lshl_add_u64 v[2:3], v[2:3], 1, s[6:7]
.LBB0_41:                               ; =>This Inner Loop Header: Depth=1
	global_load_b64 v[6:7], v[2:3], off
	v_add_nc_u32_e32 v5, -8, v5
	s_wait_xcnt 0x0
	v_add_nc_u64_e32 v[2:3], 8, v[2:3]
	s_wait_loadcnt 0x0
	ds_store_b64 v4, v[6:7]
	v_add_nc_u32_e32 v4, 8, v4
	v_cmp_eq_u32_e32 vcc_lo, 0, v5
	s_or_b32 s5, vcc_lo, s5
	s_delay_alu instid0(SALU_CYCLE_1)
	s_and_not1_b32 exec_lo, exec_lo, s5
	s_cbranch_execnz .LBB0_41
.LBB0_42:
	s_or_b32 exec_lo, exec_lo, s4
	v_sub_nc_u32_e32 v2, 0x5b, v0
	s_delay_alu instid0(VALU_DEP_1) | instskip(NEXT) | instid1(VALU_DEP_1)
	v_and_b32_e32 v3, 0x7c, v2
	v_cmp_ne_u32_e32 vcc_lo, v2, v3
	v_add_nc_u32_e32 v4, v0, v3
	s_or_not1_b32 s4, vcc_lo, exec_lo
.LBB0_43:
	s_or_b32 exec_lo, exec_lo, s23
	s_delay_alu instid0(SALU_CYCLE_1)
	s_and_b32 exec_lo, exec_lo, s4
	s_cbranch_execz .LBB0_46
; %bb.44:
	v_dual_mov_b32 v7, 0 :: v_dual_lshlrev_b32 v6, 1, v4
	s_mov_b32 s5, 0
	s_lshl_b32 s4, s13, 1
	s_delay_alu instid0(VALU_DEP_1) | instskip(NEXT) | instid1(VALU_DEP_2)
	v_add_nc_u32_e32 v5, 0x1c80, v6
	v_add_nc_u64_e32 v[2:3], s[6:7], v[6:7]
	s_mov_b32 s6, s5
.LBB0_45:                               ; =>This Inner Loop Header: Depth=1
	global_load_u16 v6, v[2:3], off
	v_add_nc_u32_e32 v4, s13, v4
	s_wait_xcnt 0x0
	v_add_nc_u64_e32 v[2:3], s[4:5], v[2:3]
	s_wait_loadcnt 0x0
	ds_store_b16 v5, v6
	v_add_nc_u32_e32 v5, s4, v5
	v_cmp_lt_u32_e32 vcc_lo, 0x5a, v4
	s_or_b32 s6, vcc_lo, s6
	s_delay_alu instid0(SALU_CYCLE_1)
	s_and_not1_b32 exec_lo, exec_lo, s6
	s_cbranch_execnz .LBB0_45
.LBB0_46:
	s_or_b32 exec_lo, exec_lo, s22
	v_dual_lshrrev_b32 v2, 5, v0 :: v_dual_bitop2_b32 v8, 31, v0 bitop3:0x40
	v_lshlrev_b32_e32 v7, 1, v0
	s_add_co_i32 s23, s30, s29
	s_wait_dscnt 0x0
	s_delay_alu instid0(VALU_DEP_2)
	v_lshlrev_b32_e32 v9, 1, v2
	s_cmp_eq_u32 s23, 1
	v_cmp_eq_u32_e32 vcc_lo, 0, v8
	s_barrier_signal -1
	s_barrier_wait -1
	s_cbranch_scc1 .LBB0_70
; %bb.47:
	s_load_b32 s4, s[0:1], 0x50
	v_dual_mov_b32 v2, 1 :: v_dual_add_nc_u32 v3, -1, v0
	v_sub_co_u32 v4, s6, v0, 1
	v_dual_add_nc_u32 v18, -2, v7 :: v_dual_add_nc_u32 v6, 1, v0
	v_xad_u32 v5, v0, -1, s28
	s_delay_alu instid0(VALU_DEP_4)
	v_and_b32_e32 v3, 31, v3
	s_wait_xcnt 0x0
	v_cmp_lt_u32_e64 s1, 31, v0
	v_cmp_eq_u32_e64 s0, 31, v8
	v_or_b32_e32 v10, 0x1d40, v9
	v_or_b32_e32 v12, 0x1dc0, v9
	;; [unrolled: 1-line block ×5, first 2 shown]
	v_add_nc_u32_e32 v16, 0x1d7e, v9
	v_dual_mov_b32 v24, s31 :: v_dual_add_nc_u32 v17, 0x1dbe, v9
	v_lshl_add_u32 v19, v4, 1, 0x800
	v_add_nc_u32_e32 v20, 0x1d3e, v9
	v_dual_mov_b32 v4, 0 :: v_dual_add_nc_u32 v21, 0xffe, v7
	v_lshl_add_u32 v22, v1, 1, 0x1c80
	v_dual_cndmask_b32 v23, v6, v5, s2 :: v_dual_mov_b32 v5, 0
	v_dual_mov_b32 v6, 0 :: v_dual_lshlrev_b32 v25, 2, v3
	v_dual_mov_b32 v1, 0 :: v_dual_mov_b32 v11, 0
	v_dual_mov_b32 v28, 0 :: v_dual_mov_b32 v3, 0
	v_mov_b32_e32 v27, 0
	s_max_u32 s5, s29, s30
	s_wait_kmcnt 0x0
	s_lshr_b32 s7, s4, 16
	s_mov_b32 s22, 0
	s_and_b32 s1, s1, vcc_lo
	s_add_co_i32 s23, s23, -1
	v_mov_b32_e32 v26, v28
	s_and_saveexec_b32 s24, s0
	s_cbranch_execz .LBB0_49
.LBB0_48:
	ds_store_b16 v13, v4
	ds_store_b16 v12, v26
	;; [unrolled: 1-line block ×3, first 2 shown]
.LBB0_49:                               ; =>This Inner Loop Header: Depth=1
	s_or_b32 exec_lo, exec_lo, s24
	s_cmp_ge_u32 s22, s5
	s_cselect_b32 s24, -1, 0
	s_cmp_lt_u32 s22, s5
	s_cselect_b32 s25, -1, 0
	s_delay_alu instid0(SALU_CYCLE_1)
	s_and_b32 vcc_lo, exec_lo, s25
	s_cbranch_vccnz .LBB0_51
; %bb.50:                               ;   in Loop: Header=BB0_49 Depth=1
	ds_store_b16 v7, v4
	ds_store_b16 v15, v26
	;; [unrolled: 1-line block ×3, first 2 shown]
.LBB0_51:                               ;   in Loop: Header=BB0_49 Depth=1
	s_cmp_lt_u32 s22, s28
	s_wait_dscnt 0x0
	s_cselect_b32 s29, -1, 0
	s_barrier_signal -1
	s_or_b32 s24, s29, s24
	s_barrier_wait -1
	v_cndmask_b32_e64 v28, 0, 1, s24
	s_delay_alu instid0(VALU_DEP_1) | instskip(NEXT) | instid1(VALU_DEP_1)
	v_dual_mov_b32 v30, 0 :: v_dual_sub_nc_u32 v24, v24, v28
	v_add_nc_u32_e32 v28, v24, v0
	ds_load_u8 v29, v28
	v_mov_b32_e32 v28, 0
	s_wait_dscnt 0x0
	v_cmp_ne_u16_e32 vcc_lo, 0, v29
	v_mov_b32_e32 v29, 0
	s_and_b32 s29, s3, vcc_lo
	s_delay_alu instid0(SALU_CYCLE_1)
	s_and_saveexec_b32 s24, s29
	s_cbranch_execz .LBB0_67
; %bb.52:                               ;   in Loop: Header=BB0_49 Depth=1
	v_bfe_i32 v4, v4, 0, 16
	v_and_b32_e32 v29, 0xffff, v26
	s_and_b32 vcc_lo, exec_lo, s25
	s_mov_b32 s29, -1
	ds_bpermute_b32 v28, v25, v4
	ds_bpermute_b32 v29, v25, v29
	s_cbranch_vccz .LBB0_58
; %bb.53:                               ;   in Loop: Header=BB0_49 Depth=1
	s_and_saveexec_b32 s29, s1
	s_cbranch_execz .LBB0_55
; %bb.54:                               ;   in Loop: Header=BB0_49 Depth=1
	s_wait_dscnt 0x1
	ds_load_u16 v28, v16
.LBB0_55:                               ;   in Loop: Header=BB0_49 Depth=1
	s_or_b32 exec_lo, exec_lo, s29
	s_and_saveexec_b32 s29, s1
	s_cbranch_execz .LBB0_57
; %bb.56:                               ;   in Loop: Header=BB0_49 Depth=1
	s_wait_dscnt 0x0
	ds_load_u16 v29, v17
.LBB0_57:                               ;   in Loop: Header=BB0_49 Depth=1
	s_or_b32 exec_lo, exec_lo, s29
	s_mov_b32 s29, 0
.LBB0_58:                               ;   in Loop: Header=BB0_49 Depth=1
	s_delay_alu instid0(SALU_CYCLE_1)
	s_and_b32 vcc_lo, exec_lo, s29
	s_cbranch_vccz .LBB0_60
; %bb.59:                               ;   in Loop: Header=BB0_49 Depth=1
	s_wait_dscnt 0x0
	ds_load_u16 v28, v18
	ds_load_u16 v29, v19
.LBB0_60:                               ;   in Loop: Header=BB0_49 Depth=1
	v_and_b32_e32 v3, 0xffff, v3
	s_and_b32 vcc_lo, exec_lo, s25
	s_mov_b32 s25, -1
	ds_bpermute_b32 v30, v25, v3
	s_cbranch_vccz .LBB0_64
; %bb.61:                               ;   in Loop: Header=BB0_49 Depth=1
	s_and_saveexec_b32 s25, s1
	s_cbranch_execz .LBB0_63
; %bb.62:                               ;   in Loop: Header=BB0_49 Depth=1
	s_wait_dscnt 0x0
	ds_load_u16 v30, v20
.LBB0_63:                               ;   in Loop: Header=BB0_49 Depth=1
	s_or_b32 exec_lo, exec_lo, s25
	s_mov_b32 s25, 0
.LBB0_64:                               ;   in Loop: Header=BB0_49 Depth=1
	s_delay_alu instid0(SALU_CYCLE_1)
	s_and_not1_b32 vcc_lo, exec_lo, s25
	s_cbranch_vccnz .LBB0_66
; %bb.65:                               ;   in Loop: Header=BB0_49 Depth=1
	s_wait_dscnt 0x0
	ds_load_u16 v30, v21
.LBB0_66:                               ;   in Loop: Header=BB0_49 Depth=1
	v_dual_ashrrev_i32 v3, 31, v2 :: v_dual_sub_nc_u32 v4, s5, v2
	v_add_nc_u16 v27, v27, s7
	s_wait_dscnt 0x1
	v_add_nc_u16 v28, v28, s7
	v_add_nc_u16 v29, v29, s4
	v_add_nc_u64_e32 v[32:33], s[20:21], v[2:3]
	v_add_nc_u64_e32 v[34:35], s[20:21], v[4:5]
	s_wait_dscnt 0x0
	v_cndmask_b32_e64 v30, v30, 0, s6
	v_cndmask_b32_e64 v28, v28, 0, s6
	s_delay_alu instid0(VALU_DEP_4) | instskip(NEXT) | instid1(VALU_DEP_1)
	v_add_nc_u64_e32 v[32:33], -1, v[32:33]
	v_dual_cndmask_b32 v33, v33, v35, s2 :: v_dual_cndmask_b32 v32, v32, v34, s2
	global_load_i8 v3, v[32:33], off
	s_wait_xcnt 0x0
	v_cndmask_b32_e64 v32, v29, 0, s6
	s_wait_loadcnt 0x0
	v_lshlrev_b32_e32 v3, 1, v3
	ds_load_i16 v31, v22
	ds_load_i16 v3, v3 offset:7296
	s_wait_dscnt 0x1
	v_lshlrev_b32_e32 v31, 1, v31
	s_wait_dscnt 0x0
	s_delay_alu instid0(VALU_DEP_1)
	v_mad_i32_i24 v3, v3, 48, v31
	v_add_nc_u16 v31, v26, s4
	ds_load_u16 v3, v3 offset:6144
	v_max_i16 v29, v27, v31
	s_wait_dscnt 0x0
	v_add_nc_u16 v3, v3, v30
	v_max_i16 v30, v28, v32
	s_delay_alu instid0(VALU_DEP_2) | instskip(NEXT) | instid1(VALU_DEP_1)
	v_max_i16 v3, v3, v29
	v_max3_i16 v28, v3, v30, 0
	v_dual_cndmask_b32 v3, v2, v4, s2 :: v_dual_add_nc_u32 v2, 1, v2
	s_delay_alu instid0(VALU_DEP_2) | instskip(SKIP_1) | instid1(VALU_DEP_3)
	v_cmp_lt_i16_e32 vcc_lo, v11, v28
	v_max_i16 v11, v11, v28
	v_cndmask_b32_e32 v1, v1, v3, vcc_lo
	v_cndmask_b32_e32 v6, v6, v23, vcc_lo
.LBB0_67:                               ;   in Loop: Header=BB0_49 Depth=1
	s_or_b32 exec_lo, exec_lo, s24
	s_add_co_i32 s22, s22, 1
	s_delay_alu instid0(SALU_CYCLE_1)
	s_cmp_eq_u32 s23, s22
	s_barrier_signal -1
	s_barrier_wait -1
	s_cbranch_scc1 .LBB0_71
; %bb.68:                               ;   in Loop: Header=BB0_49 Depth=1
	v_dual_mov_b32 v4, v30 :: v_dual_mov_b32 v3, v26
	v_dual_mov_b32 v27, v29 :: v_dual_mov_b32 v26, v28
	s_and_saveexec_b32 s24, s0
	s_cbranch_execnz .LBB0_48
	s_branch .LBB0_49
.LBB0_69:
                                        ; implicit-def: $sgpr29
                                        ; implicit-def: $sgpr30
                                        ; implicit-def: $sgpr22_sgpr23
                                        ; implicit-def: $sgpr24_sgpr25
	s_branch .LBB0_2
.LBB0_70:
	v_dual_mov_b32 v1, 0 :: v_dual_mov_b32 v6, 0
	v_mov_b32_e32 v11, 0
.LBB0_71:
	v_mbcnt_lo_u32_b32 v10, -1, 0
	s_delay_alu instid0(VALU_DEP_2) | instskip(NEXT) | instid1(VALU_DEP_4)
	v_and_b32_e32 v5, 0xffff, v11
	v_bfe_i32 v16, v1, 0, 16
	v_bfe_i32 v3, v6, 0, 16
	s_mov_b32 s0, exec_lo
	v_lshl_or_b32 v2, v10, 2, 64
	ds_bpermute_b32 v14, v2, v5
	ds_bpermute_b32 v13, v2, v16
	;; [unrolled: 1-line block ×3, first 2 shown]
	s_wait_dscnt 0x2
	v_bfe_i32 v12, v14, 0, 16
	s_delay_alu instid0(VALU_DEP_1) | instskip(SKIP_1) | instid1(VALU_DEP_1)
	v_cmp_lt_i32_e32 vcc_lo, v12, v5
	v_cndmask_b32_e32 v15, v14, v11, vcc_lo
	v_mov_b32_e32 v14, v15
	v_cmpx_eq_u16_e64 v15, v11
	s_cbranch_execz .LBB0_78
; %bb.72:
	v_cmp_eq_u32_e32 vcc_lo, v12, v5
	v_dual_mov_b32 v5, v6 :: v_dual_mov_b32 v12, v1
	s_and_saveexec_b32 s1, vcc_lo
	s_cbranch_execz .LBB0_77
; %bb.73:
	s_and_b32 vcc_lo, exec_lo, s26
	s_cbranch_vccz .LBB0_75
; %bb.74:
	s_wait_dscnt 0x1
	v_bfe_i32 v5, v13, 0, 16
	s_delay_alu instid0(VALU_DEP_1)
	v_cmp_lt_i32_e32 vcc_lo, v5, v16
	s_wait_dscnt 0x0
	v_dual_cndmask_b32 v12, v1, v13 :: v_dual_cndmask_b32 v5, v6, v4
	s_cbranch_execz .LBB0_76
	s_branch .LBB0_77
.LBB0_75:
                                        ; implicit-def: $vgpr5
                                        ; implicit-def: $vgpr12
.LBB0_76:
	s_wait_dscnt 0x0
	v_bfe_i32 v5, v4, 0, 16
	s_delay_alu instid0(VALU_DEP_1)
	v_cmp_gt_i32_e32 vcc_lo, v5, v3
	v_dual_cndmask_b32 v12, v1, v13 :: v_dual_cndmask_b32 v5, v6, v4
.LBB0_77:
	s_or_b32 exec_lo, exec_lo, s1
	s_wait_dscnt 0x1
	s_delay_alu instid0(VALU_DEP_1)
	v_dual_mov_b32 v14, v11 :: v_dual_mov_b32 v13, v12
	s_wait_dscnt 0x0
	v_mov_b32_e32 v4, v5
.LBB0_78:
	s_or_b32 exec_lo, exec_lo, s0
	v_cmp_gt_u32_e32 vcc_lo, 24, v10
	v_bfe_i32 v16, v15, 0, 16
	s_wait_dscnt 0x1
	v_bfe_i32 v17, v13, 0, 16
	s_wait_dscnt 0x0
	v_bfe_i32 v11, v4, 0, 16
	s_mov_b32 s0, exec_lo
	v_cndmask_b32_e64 v3, 0, 8, vcc_lo
	s_delay_alu instid0(VALU_DEP_1)
	v_add_lshl_u32 v3, v3, v10, 2
	ds_bpermute_b32 v19, v3, v16
	ds_bpermute_b32 v12, v3, v17
	;; [unrolled: 1-line block ×3, first 2 shown]
	s_wait_dscnt 0x2
	v_bfe_i32 v18, v19, 0, 16
	s_delay_alu instid0(VALU_DEP_1) | instskip(SKIP_1) | instid1(VALU_DEP_1)
	v_cmp_lt_i32_e32 vcc_lo, v18, v16
	v_cndmask_b32_e32 v16, v19, v15, vcc_lo
	v_mov_b32_e32 v15, v16
	v_cmpx_eq_u16_e64 v16, v14
	s_cbranch_execz .LBB0_86
; %bb.79:
	v_bfe_i32 v15, v14, 0, 16
	s_mov_b32 s1, exec_lo
	s_delay_alu instid0(VALU_DEP_1)
	v_cmpx_eq_u32_e64 v18, v15
	s_cbranch_execz .LBB0_85
; %bb.80:
	s_and_not1_b32 vcc_lo, exec_lo, s26
	s_cbranch_vccnz .LBB0_82
; %bb.81:
	s_wait_dscnt 0x1
	v_bfe_i32 v15, v12, 0, 16
	s_delay_alu instid0(VALU_DEP_1)
	v_cmp_lt_i32_e32 vcc_lo, v15, v17
	s_wait_dscnt 0x0
	v_dual_cndmask_b32 v15, v13, v12, vcc_lo :: v_dual_cndmask_b32 v17, v4, v5, vcc_lo
	s_cbranch_execz .LBB0_83
	s_branch .LBB0_84
.LBB0_82:
                                        ; implicit-def: $vgpr17
                                        ; implicit-def: $vgpr15
.LBB0_83:
	s_wait_dscnt 0x0
	v_bfe_i32 v15, v5, 0, 16
	s_delay_alu instid0(VALU_DEP_1)
	v_cmp_gt_i32_e32 vcc_lo, v15, v11
	v_dual_cndmask_b32 v15, v13, v12, vcc_lo :: v_dual_cndmask_b32 v17, v4, v5, vcc_lo
.LBB0_84:
	s_delay_alu instid0(VALU_DEP_1)
	v_dual_mov_b32 v4, v17 :: v_dual_mov_b32 v13, v15
.LBB0_85:
	s_or_b32 exec_lo, exec_lo, s1
	s_wait_dscnt 0x1
	s_delay_alu instid0(VALU_DEP_1)
	v_dual_mov_b32 v15, v14 :: v_dual_mov_b32 v12, v13
	s_wait_dscnt 0x0
	v_mov_b32_e32 v5, v4
.LBB0_86:
	s_or_b32 exec_lo, exec_lo, s0
	v_cmp_gt_u32_e32 vcc_lo, 28, v10
	v_bfe_i32 v17, v16, 0, 16
	s_wait_dscnt 0x1
	v_bfe_i32 v18, v12, 0, 16
	s_wait_dscnt 0x0
	v_bfe_i32 v14, v5, 0, 16
	s_mov_b32 s0, exec_lo
	v_cndmask_b32_e64 v4, 0, 4, vcc_lo
	s_delay_alu instid0(VALU_DEP_1)
	v_add_lshl_u32 v4, v4, v10, 2
	ds_bpermute_b32 v20, v4, v17
	ds_bpermute_b32 v13, v4, v18
	;; [unrolled: 1-line block ×3, first 2 shown]
	s_wait_dscnt 0x2
	v_bfe_i32 v19, v20, 0, 16
	s_delay_alu instid0(VALU_DEP_1) | instskip(SKIP_1) | instid1(VALU_DEP_1)
	v_cmp_lt_i32_e32 vcc_lo, v19, v17
	v_cndmask_b32_e32 v17, v20, v16, vcc_lo
	v_mov_b32_e32 v16, v17
	v_cmpx_eq_u16_e64 v17, v15
	s_cbranch_execz .LBB0_94
; %bb.87:
	v_bfe_i32 v16, v15, 0, 16
	s_mov_b32 s1, exec_lo
	s_delay_alu instid0(VALU_DEP_1)
	v_cmpx_eq_u32_e64 v19, v16
	s_cbranch_execz .LBB0_93
; %bb.88:
	s_and_not1_b32 vcc_lo, exec_lo, s26
	s_cbranch_vccnz .LBB0_90
; %bb.89:
	s_wait_dscnt 0x1
	v_bfe_i32 v16, v13, 0, 16
	s_delay_alu instid0(VALU_DEP_1)
	v_cmp_lt_i32_e32 vcc_lo, v16, v18
	s_wait_dscnt 0x0
	v_dual_cndmask_b32 v16, v12, v13, vcc_lo :: v_dual_cndmask_b32 v18, v5, v11, vcc_lo
	s_cbranch_execz .LBB0_91
	s_branch .LBB0_92
.LBB0_90:
                                        ; implicit-def: $vgpr18
                                        ; implicit-def: $vgpr16
.LBB0_91:
	s_wait_dscnt 0x0
	v_bfe_i32 v16, v11, 0, 16
	s_delay_alu instid0(VALU_DEP_1)
	v_cmp_gt_i32_e32 vcc_lo, v16, v14
	v_dual_cndmask_b32 v16, v12, v13, vcc_lo :: v_dual_cndmask_b32 v18, v5, v11, vcc_lo
.LBB0_92:
	s_delay_alu instid0(VALU_DEP_1)
	v_dual_mov_b32 v5, v18 :: v_dual_mov_b32 v12, v16
.LBB0_93:
	s_or_b32 exec_lo, exec_lo, s1
	s_wait_dscnt 0x1
	s_delay_alu instid0(VALU_DEP_1)
	v_dual_mov_b32 v16, v15 :: v_dual_mov_b32 v13, v12
	s_wait_dscnt 0x0
	v_mov_b32_e32 v11, v5
.LBB0_94:
	s_or_b32 exec_lo, exec_lo, s0
	v_cmp_gt_u32_e32 vcc_lo, 30, v10
	v_bfe_i32 v15, v17, 0, 16
	s_wait_dscnt 0x1
	v_bfe_i32 v19, v13, 0, 16
	s_wait_dscnt 0x0
	v_bfe_i32 v18, v11, 0, 16
	s_mov_b32 s0, exec_lo
	v_cndmask_b32_e64 v5, 0, 2, vcc_lo
	s_delay_alu instid0(VALU_DEP_1)
	v_add_lshl_u32 v5, v5, v10, 2
	ds_bpermute_b32 v21, v5, v15
	ds_bpermute_b32 v14, v5, v19
	;; [unrolled: 1-line block ×3, first 2 shown]
	s_wait_dscnt 0x2
	v_bfe_i32 v20, v21, 0, 16
	s_delay_alu instid0(VALU_DEP_1) | instskip(SKIP_1) | instid1(VALU_DEP_1)
	v_cmp_lt_i32_e32 vcc_lo, v20, v15
	v_cndmask_b32_e32 v17, v21, v17, vcc_lo
	v_mov_b32_e32 v15, v17
	v_cmpx_eq_u16_e64 v17, v16
	s_cbranch_execz .LBB0_102
; %bb.95:
	v_bfe_i32 v15, v16, 0, 16
	s_mov_b32 s1, exec_lo
	s_delay_alu instid0(VALU_DEP_1)
	v_cmpx_eq_u32_e64 v20, v15
	s_cbranch_execz .LBB0_101
; %bb.96:
	s_and_not1_b32 vcc_lo, exec_lo, s26
	s_cbranch_vccnz .LBB0_98
; %bb.97:
	s_wait_dscnt 0x1
	v_bfe_i32 v15, v14, 0, 16
	s_delay_alu instid0(VALU_DEP_1)
	v_cmp_lt_i32_e32 vcc_lo, v15, v19
	s_wait_dscnt 0x0
	v_dual_cndmask_b32 v15, v13, v14, vcc_lo :: v_dual_cndmask_b32 v19, v11, v12, vcc_lo
	s_cbranch_execz .LBB0_99
	s_branch .LBB0_100
.LBB0_98:
                                        ; implicit-def: $vgpr19
                                        ; implicit-def: $vgpr15
.LBB0_99:
	s_wait_dscnt 0x0
	v_bfe_i32 v15, v12, 0, 16
	s_delay_alu instid0(VALU_DEP_1)
	v_cmp_gt_i32_e32 vcc_lo, v15, v18
	v_dual_cndmask_b32 v15, v13, v14, vcc_lo :: v_dual_cndmask_b32 v19, v11, v12, vcc_lo
.LBB0_100:
	s_delay_alu instid0(VALU_DEP_1)
	v_dual_mov_b32 v11, v19 :: v_dual_mov_b32 v13, v15
.LBB0_101:
	s_or_b32 exec_lo, exec_lo, s1
	s_wait_dscnt 0x1
	s_delay_alu instid0(VALU_DEP_1)
	v_dual_mov_b32 v15, v16 :: v_dual_mov_b32 v14, v13
	s_wait_dscnt 0x0
	v_mov_b32_e32 v12, v11
.LBB0_102:
	s_or_b32 exec_lo, exec_lo, s0
	v_cmp_ne_u32_e32 vcc_lo, 31, v10
	v_bfe_i32 v20, v17, 0, 16
	s_wait_dscnt 0x1
	v_bfe_i32 v18, v14, 0, 16
	s_wait_dscnt 0x0
	v_bfe_i32 v16, v12, 0, 16
	s_mov_b32 s0, exec_lo
	v_add_co_ci_u32_e64 v10, null, 0, v10, vcc_lo
	s_delay_alu instid0(VALU_DEP_1) | instskip(SKIP_3) | instid1(VALU_DEP_1)
	v_lshlrev_b32_e32 v10, 2, v10
	ds_bpermute_b32 v21, v10, v20
	s_wait_dscnt 0x0
	v_bfe_i32 v19, v21, 0, 16
	v_cmp_lt_i32_e32 vcc_lo, v19, v20
	v_cndmask_b32_e32 v17, v21, v17, vcc_lo
	ds_bpermute_b32 v11, v10, v18
	ds_bpermute_b32 v13, v10, v16
	v_cmpx_eq_u16_e64 v17, v15
	s_cbranch_execz .LBB0_110
; %bb.103:
	v_bfe_i32 v17, v15, 0, 16
	s_mov_b32 s1, exec_lo
	s_delay_alu instid0(VALU_DEP_1)
	v_cmpx_eq_u32_e64 v19, v17
	s_cbranch_execz .LBB0_109
; %bb.104:
	s_and_not1_b32 vcc_lo, exec_lo, s26
	s_cbranch_vccnz .LBB0_106
; %bb.105:
	s_wait_dscnt 0x1
	v_bfe_i32 v17, v11, 0, 16
	s_delay_alu instid0(VALU_DEP_1)
	v_cmp_lt_i32_e32 vcc_lo, v17, v18
	s_wait_dscnt 0x0
	v_dual_cndmask_b32 v17, v14, v11 :: v_dual_cndmask_b32 v18, v12, v13
	s_cbranch_execz .LBB0_107
	s_branch .LBB0_108
.LBB0_106:
                                        ; implicit-def: $vgpr18
                                        ; implicit-def: $vgpr17
.LBB0_107:
	s_wait_dscnt 0x0
	v_bfe_i32 v17, v13, 0, 16
	s_delay_alu instid0(VALU_DEP_1)
	v_cmp_gt_i32_e32 vcc_lo, v17, v16
	v_dual_cndmask_b32 v17, v14, v11 :: v_dual_cndmask_b32 v18, v12, v13
.LBB0_108:
	s_delay_alu instid0(VALU_DEP_1)
	v_dual_mov_b32 v12, v18 :: v_dual_mov_b32 v14, v17
.LBB0_109:
	s_or_b32 exec_lo, exec_lo, s1
	s_wait_dscnt 0x1
	s_delay_alu instid0(VALU_DEP_1)
	v_dual_mov_b32 v17, v15 :: v_dual_mov_b32 v11, v14
	s_wait_dscnt 0x0
	v_mov_b32_e32 v13, v12
.LBB0_110:
	s_or_b32 exec_lo, exec_lo, s0
	s_delay_alu instid0(SALU_CYCLE_1)
	s_mov_b32 s0, exec_lo
	v_cmpx_eq_u32_e32 0, v8
	s_cbranch_execz .LBB0_112
; %bb.111:
	ds_store_b16 v9, v17 offset:7744
	s_wait_dscnt 0x2
	ds_store_b16 v9, v11 offset:7680
	s_wait_dscnt 0x2
	ds_store_b16 v9, v13 offset:7808
.LBB0_112:
	s_or_b32 exec_lo, exec_lo, s0
	s_add_co_i32 s13, s13, 31
	s_wait_dscnt 0x1
	v_dual_mov_b32 v8, 0 :: v_dual_mov_b32 v11, -1
	s_lshr_b32 s0, s13, 5
	v_mov_b32_e32 v9, -1
	v_cmp_gt_u32_e32 vcc_lo, s0, v0
	s_wait_dscnt 0x0
	s_barrier_signal -1
	s_barrier_wait -1
	s_and_saveexec_b32 s0, vcc_lo
	s_cbranch_execz .LBB0_114
; %bb.113:
	ds_load_u16 v8, v7 offset:7744
	ds_load_u16 v9, v7 offset:7808
	;; [unrolled: 1-line block ×3, first 2 shown]
.LBB0_114:
	s_or_b32 exec_lo, exec_lo, s0
	s_delay_alu instid0(SALU_CYCLE_1)
	s_mov_b32 s0, exec_lo
	s_wait_dscnt 0x0
	s_barrier_signal -1
	s_barrier_wait -1
	v_cmpx_gt_u32_e32 32, v0
	s_cbranch_execz .LBB0_156
; %bb.115:
	v_bfe_i32 v14, v8, 0, 16
	v_bfe_i32 v6, v11, 0, 16
	;; [unrolled: 1-line block ×3, first 2 shown]
	s_mov_b32 s1, exec_lo
	ds_bpermute_b32 v12, v2, v14
	ds_bpermute_b32 v7, v2, v6
	;; [unrolled: 1-line block ×3, first 2 shown]
	s_wait_dscnt 0x2
	v_bfe_i32 v15, v12, 0, 16
	s_delay_alu instid0(VALU_DEP_1) | instskip(SKIP_1) | instid1(VALU_DEP_1)
	v_cmp_lt_i32_e32 vcc_lo, v15, v14
	v_cndmask_b32_e32 v13, v12, v8, vcc_lo
	v_mov_b32_e32 v12, v13
	v_cmpx_eq_u16_e64 v13, v8
	s_cbranch_execz .LBB0_123
; %bb.116:
	s_mov_b32 s2, exec_lo
	v_cmpx_eq_u32_e64 v15, v14
	s_cbranch_execz .LBB0_122
; %bb.117:
	s_and_b32 vcc_lo, exec_lo, s26
	s_cbranch_vccz .LBB0_119
; %bb.118:
	s_wait_dscnt 0x1
	v_bfe_i32 v12, v7, 0, 16
	s_delay_alu instid0(VALU_DEP_1)
	v_cmp_lt_i32_e32 vcc_lo, v12, v6
	s_wait_dscnt 0x0
	v_dual_cndmask_b32 v6, v11, v7, vcc_lo :: v_dual_cndmask_b32 v12, v9, v2, vcc_lo
	s_cbranch_execz .LBB0_120
	s_branch .LBB0_121
.LBB0_119:
                                        ; implicit-def: $vgpr12
                                        ; implicit-def: $vgpr6
.LBB0_120:
	s_wait_dscnt 0x0
	v_bfe_i32 v6, v2, 0, 16
	s_delay_alu instid0(VALU_DEP_1)
	v_cmp_gt_i32_e32 vcc_lo, v6, v1
	v_dual_cndmask_b32 v6, v11, v7, vcc_lo :: v_dual_cndmask_b32 v12, v9, v2, vcc_lo
.LBB0_121:
	s_delay_alu instid0(VALU_DEP_1)
	v_dual_mov_b32 v9, v12 :: v_dual_mov_b32 v11, v6
.LBB0_122:
	s_or_b32 exec_lo, exec_lo, s2
	s_wait_dscnt 0x1
	s_delay_alu instid0(VALU_DEP_1)
	v_dual_mov_b32 v12, v8 :: v_dual_mov_b32 v7, v11
	s_wait_dscnt 0x0
	v_mov_b32_e32 v2, v9
.LBB0_123:
	s_or_b32 exec_lo, exec_lo, s1
	v_bfe_i32 v8, v13, 0, 16
	s_wait_dscnt 0x1
	v_bfe_i32 v11, v7, 0, 16
	s_wait_dscnt 0x0
	v_bfe_i32 v9, v2, 0, 16
	s_mov_b32 s1, exec_lo
	ds_bpermute_b32 v15, v3, v8
	ds_bpermute_b32 v6, v3, v11
	;; [unrolled: 1-line block ×3, first 2 shown]
	s_wait_dscnt 0x2
	v_bfe_i32 v14, v15, 0, 16
	s_delay_alu instid0(VALU_DEP_1) | instskip(SKIP_1) | instid1(VALU_DEP_1)
	v_cmp_lt_i32_e32 vcc_lo, v14, v8
	v_cndmask_b32_e32 v8, v15, v13, vcc_lo
	v_mov_b32_e32 v3, v8
	v_cmpx_eq_u16_e64 v8, v12
	s_cbranch_execz .LBB0_131
; %bb.124:
	v_bfe_i32 v3, v12, 0, 16
	s_mov_b32 s2, exec_lo
	s_delay_alu instid0(VALU_DEP_1)
	v_cmpx_eq_u32_e64 v14, v3
	s_cbranch_execz .LBB0_130
; %bb.125:
	s_and_not1_b32 vcc_lo, exec_lo, s26
	s_cbranch_vccnz .LBB0_127
; %bb.126:
	s_wait_dscnt 0x1
	v_bfe_i32 v3, v6, 0, 16
	s_delay_alu instid0(VALU_DEP_1)
	v_cmp_lt_i32_e32 vcc_lo, v3, v11
	s_wait_dscnt 0x0
	v_dual_cndmask_b32 v3, v7, v6, vcc_lo :: v_dual_cndmask_b32 v11, v2, v1, vcc_lo
	s_cbranch_execz .LBB0_128
	s_branch .LBB0_129
.LBB0_127:
                                        ; implicit-def: $vgpr11
                                        ; implicit-def: $vgpr3
.LBB0_128:
	s_wait_dscnt 0x0
	v_bfe_i32 v3, v1, 0, 16
	s_delay_alu instid0(VALU_DEP_1)
	v_cmp_gt_i32_e32 vcc_lo, v3, v9
	v_dual_cndmask_b32 v3, v7, v6, vcc_lo :: v_dual_cndmask_b32 v11, v2, v1, vcc_lo
.LBB0_129:
	s_delay_alu instid0(VALU_DEP_1)
	v_dual_mov_b32 v2, v11 :: v_dual_mov_b32 v7, v3
.LBB0_130:
	s_or_b32 exec_lo, exec_lo, s2
	s_wait_dscnt 0x1
	s_delay_alu instid0(VALU_DEP_1)
	v_dual_mov_b32 v3, v12 :: v_dual_mov_b32 v6, v7
	s_wait_dscnt 0x0
	v_mov_b32_e32 v1, v2
.LBB0_131:
	s_or_b32 exec_lo, exec_lo, s1
	v_bfe_i32 v9, v8, 0, 16
	s_wait_dscnt 0x1
	v_bfe_i32 v12, v6, 0, 16
	s_wait_dscnt 0x0
	v_bfe_i32 v11, v1, 0, 16
	s_mov_b32 s1, exec_lo
	ds_bpermute_b32 v13, v4, v9
	ds_bpermute_b32 v7, v4, v12
	;; [unrolled: 1-line block ×3, first 2 shown]
	s_wait_dscnt 0x2
	v_bfe_i32 v4, v13, 0, 16
	s_delay_alu instid0(VALU_DEP_1) | instskip(SKIP_1) | instid1(VALU_DEP_1)
	v_cmp_lt_i32_e32 vcc_lo, v4, v9
	v_cndmask_b32_e32 v9, v13, v8, vcc_lo
	v_mov_b32_e32 v8, v9
	v_cmpx_eq_u16_e64 v9, v3
	s_cbranch_execz .LBB0_139
; %bb.132:
	v_bfe_i32 v8, v3, 0, 16
	s_mov_b32 s2, exec_lo
	s_delay_alu instid0(VALU_DEP_1)
	v_cmpx_eq_u32_e64 v4, v8
	s_cbranch_execz .LBB0_138
; %bb.133:
	s_and_not1_b32 vcc_lo, exec_lo, s26
	s_cbranch_vccnz .LBB0_135
; %bb.134:
	s_wait_dscnt 0x1
	v_bfe_i32 v4, v7, 0, 16
	s_delay_alu instid0(VALU_DEP_1)
	v_cmp_lt_i32_e32 vcc_lo, v4, v12
	s_wait_dscnt 0x0
	v_dual_cndmask_b32 v4, v6, v7, vcc_lo :: v_dual_cndmask_b32 v8, v1, v2, vcc_lo
	s_cbranch_execz .LBB0_136
	s_branch .LBB0_137
.LBB0_135:
                                        ; implicit-def: $vgpr8
                                        ; implicit-def: $vgpr4
.LBB0_136:
	s_wait_dscnt 0x0
	v_bfe_i32 v4, v2, 0, 16
	s_delay_alu instid0(VALU_DEP_1)
	v_cmp_gt_i32_e32 vcc_lo, v4, v11
	v_dual_cndmask_b32 v4, v6, v7, vcc_lo :: v_dual_cndmask_b32 v8, v1, v2, vcc_lo
.LBB0_137:
	s_delay_alu instid0(VALU_DEP_1)
	v_dual_mov_b32 v1, v8 :: v_dual_mov_b32 v6, v4
.LBB0_138:
	s_or_b32 exec_lo, exec_lo, s2
	s_wait_dscnt 0x1
	s_delay_alu instid0(VALU_DEP_1)
	v_dual_mov_b32 v8, v3 :: v_dual_mov_b32 v7, v6
	s_wait_dscnt 0x0
	v_mov_b32_e32 v2, v1
.LBB0_139:
	s_or_b32 exec_lo, exec_lo, s1
	v_bfe_i32 v12, v9, 0, 16
	s_wait_dscnt 0x1
	v_bfe_i32 v6, v7, 0, 16
	s_wait_dscnt 0x0
	v_bfe_i32 v1, v2, 0, 16
	s_mov_b32 s1, exec_lo
	ds_bpermute_b32 v13, v5, v12
	ds_bpermute_b32 v4, v5, v6
	;; [unrolled: 1-line block ×3, first 2 shown]
	s_wait_dscnt 0x2
	v_bfe_i32 v11, v13, 0, 16
	s_delay_alu instid0(VALU_DEP_1) | instskip(SKIP_1) | instid1(VALU_DEP_1)
	v_cmp_lt_i32_e32 vcc_lo, v11, v12
	v_cndmask_b32_e32 v9, v13, v9, vcc_lo
	v_mov_b32_e32 v5, v9
	v_cmpx_eq_u16_e64 v9, v8
	s_cbranch_execz .LBB0_147
; %bb.140:
	v_bfe_i32 v5, v8, 0, 16
	s_mov_b32 s2, exec_lo
	s_delay_alu instid0(VALU_DEP_1)
	v_cmpx_eq_u32_e64 v11, v5
	s_cbranch_execz .LBB0_146
; %bb.141:
	s_and_not1_b32 vcc_lo, exec_lo, s26
	s_cbranch_vccnz .LBB0_143
; %bb.142:
	s_wait_dscnt 0x1
	v_bfe_i32 v5, v4, 0, 16
	s_delay_alu instid0(VALU_DEP_1)
	v_cmp_lt_i32_e32 vcc_lo, v5, v6
	s_wait_dscnt 0x0
	v_dual_cndmask_b32 v5, v7, v4 :: v_dual_cndmask_b32 v6, v2, v3
	s_cbranch_execz .LBB0_144
	s_branch .LBB0_145
.LBB0_143:
                                        ; implicit-def: $vgpr6
                                        ; implicit-def: $vgpr5
.LBB0_144:
	s_wait_dscnt 0x0
	v_bfe_i32 v5, v3, 0, 16
	s_delay_alu instid0(VALU_DEP_1)
	v_cmp_gt_i32_e32 vcc_lo, v5, v1
	v_dual_cndmask_b32 v5, v7, v4 :: v_dual_cndmask_b32 v6, v2, v3
.LBB0_145:
	s_delay_alu instid0(VALU_DEP_1)
	v_dual_mov_b32 v2, v6 :: v_dual_mov_b32 v7, v5
.LBB0_146:
	s_or_b32 exec_lo, exec_lo, s2
	s_wait_dscnt 0x1
	s_delay_alu instid0(VALU_DEP_1)
	v_dual_mov_b32 v5, v8 :: v_dual_mov_b32 v4, v7
	s_wait_dscnt 0x0
	v_mov_b32_e32 v3, v2
.LBB0_147:
	s_or_b32 exec_lo, exec_lo, s1
	v_bfe_i32 v8, v9, 0, 16
	s_wait_dscnt 0x1
	v_bfe_i32 v7, v4, 0, 16
	s_wait_dscnt 0x0
	v_bfe_i32 v2, v3, 0, 16
	s_mov_b32 s1, exec_lo
	ds_bpermute_b32 v11, v10, v8
	ds_bpermute_b32 v1, v10, v7
	;; [unrolled: 1-line block ×3, first 2 shown]
	s_wait_dscnt 0x2
	v_bfe_i32 v10, v11, 0, 16
	s_delay_alu instid0(VALU_DEP_1) | instskip(SKIP_1) | instid1(VALU_DEP_1)
	v_cmp_lt_i32_e32 vcc_lo, v10, v8
	v_cndmask_b32_e32 v8, v11, v9, vcc_lo
	v_cmpx_eq_u16_e64 v8, v5
	s_cbranch_execz .LBB0_155
; %bb.148:
	v_bfe_i32 v8, v5, 0, 16
	s_mov_b32 s2, exec_lo
	s_delay_alu instid0(VALU_DEP_1)
	v_cmpx_eq_u32_e64 v10, v8
	s_cbranch_execz .LBB0_154
; %bb.149:
	s_and_not1_b32 vcc_lo, exec_lo, s26
	s_cbranch_vccnz .LBB0_151
; %bb.150:
	s_wait_dscnt 0x1
	v_bfe_i32 v8, v1, 0, 16
	s_delay_alu instid0(VALU_DEP_1)
	v_cmp_lt_i32_e32 vcc_lo, v8, v7
	s_wait_dscnt 0x0
	v_dual_cndmask_b32 v7, v4, v1 :: v_dual_cndmask_b32 v8, v3, v6
	s_cbranch_execz .LBB0_152
	s_branch .LBB0_153
.LBB0_151:
                                        ; implicit-def: $vgpr8
                                        ; implicit-def: $vgpr7
.LBB0_152:
	s_wait_dscnt 0x0
	v_bfe_i32 v7, v6, 0, 16
	s_delay_alu instid0(VALU_DEP_1)
	v_cmp_gt_i32_e32 vcc_lo, v7, v2
	v_dual_cndmask_b32 v7, v4, v1 :: v_dual_cndmask_b32 v8, v3, v6
.LBB0_153:
	s_delay_alu instid0(VALU_DEP_1)
	v_dual_mov_b32 v3, v8 :: v_dual_mov_b32 v4, v7
.LBB0_154:
	s_or_b32 exec_lo, exec_lo, s2
	s_wait_dscnt 0x0
	s_delay_alu instid0(VALU_DEP_1) | instskip(NEXT) | instid1(VALU_DEP_2)
	v_dual_mov_b32 v8, v5 :: v_dual_mov_b32 v6, v3
	v_mov_b32_e32 v1, v4
.LBB0_155:
	s_or_b32 exec_lo, exec_lo, s1
.LBB0_156:
	s_delay_alu instid0(SALU_CYCLE_1)
	s_or_b32 exec_lo, exec_lo, s0
	v_cmp_eq_u32_e64 s0, 0, v0
	s_and_b32 vcc_lo, exec_lo, s26
	s_mov_b32 s1, -1
	s_cbranch_vccz .LBB0_163
; %bb.157:
	s_and_saveexec_b32 s1, s0
	s_cbranch_execz .LBB0_162
; %bb.158:
	s_ashr_i32 s13, s12, 31
	s_mov_b32 s6, -1
	s_lshl_b64 s[4:5], s[12:13], 1
	s_and_b32 vcc_lo, exec_lo, s27
	s_add_nc_u64 s[2:3], s[18:19], s[4:5]
	s_cbranch_vccz .LBB0_160
; %bb.159:
	v_mov_b32_e32 v0, 0
	s_add_nc_u64 s[18:19], s[10:11], s[4:5]
	s_add_nc_u64 s[20:21], s[14:15], s[4:5]
	s_mov_b32 s6, 0
	s_wait_dscnt 0x1
	global_store_b16 v0, v1, s[18:19]
	s_wait_dscnt 0x0
	s_clause 0x1
	global_store_b16 v0, v6, s[20:21]
	global_store_b16 v0, v8, s[2:3]
.LBB0_160:
	s_and_not1_b32 vcc_lo, exec_lo, s6
	s_cbranch_vccnz .LBB0_162
; %bb.161:
	s_wait_xcnt 0x0
	v_mov_b32_e32 v0, 0
	s_add_nc_u64 s[6:7], s[14:15], s[4:5]
	s_add_nc_u64 s[4:5], s[10:11], s[4:5]
	s_wait_dscnt 0x1
	global_store_b16 v0, v1, s[6:7]
	s_wait_dscnt 0x0
	s_clause 0x1
	global_store_b16 v0, v6, s[4:5]
	global_store_b16 v0, v8, s[2:3]
.LBB0_162:
	s_wait_xcnt 0x0
	s_or_b32 exec_lo, exec_lo, s1
	s_mov_b32 s1, 0
.LBB0_163:
	s_delay_alu instid0(SALU_CYCLE_1)
	s_and_not1_b32 vcc_lo, exec_lo, s1
	s_cbranch_vccnz .LBB0_169
; %bb.164:
	s_and_saveexec_b32 s1, s0
	s_cbranch_execz .LBB0_169
; %bb.165:
	s_ashr_i32 s13, s12, 31
	s_and_b32 vcc_lo, exec_lo, s27
	s_mov_b32 s0, -1
	s_cbranch_vccz .LBB0_167
; %bb.166:
	v_mov_b32_e32 v0, 0
	s_lshl_b64 s[2:3], s[12:13], 1
	s_mov_b32 s0, 0
	s_add_nc_u64 s[4:5], s[8:9], s[2:3]
	s_add_nc_u64 s[2:3], s[16:17], s[2:3]
	s_wait_dscnt 0x1
	global_store_b16 v0, v1, s[4:5]
	s_wait_dscnt 0x0
	global_store_b16 v0, v6, s[2:3]
.LBB0_167:
	s_and_not1_b32 vcc_lo, exec_lo, s0
	s_cbranch_vccnz .LBB0_169
; %bb.168:
	s_wait_xcnt 0x0
	v_mov_b32_e32 v0, 0
	s_lshl_b64 s[0:1], s[12:13], 1
	s_delay_alu instid0(SALU_CYCLE_1)
	s_add_nc_u64 s[2:3], s[16:17], s[0:1]
	s_add_nc_u64 s[0:1], s[8:9], s[0:1]
	s_wait_dscnt 0x1
	global_store_b16 v0, v1, s[2:3]
	s_wait_dscnt 0x0
	global_store_b16 v0, v6, s[0:1]
.LBB0_169:
	s_endpgm
	.section	.rodata,"a",@progbits
	.p2align	6, 0x0
	.amdhsa_kernel _Z18sequence_aa_kernelbPKcS0_PKjS2_PsS3_S3_S3_S3_ssPKsS5_
		.amdhsa_group_segment_fixed_size 7872
		.amdhsa_private_segment_fixed_size 0
		.amdhsa_kernarg_size 360
		.amdhsa_user_sgpr_count 2
		.amdhsa_user_sgpr_dispatch_ptr 0
		.amdhsa_user_sgpr_queue_ptr 0
		.amdhsa_user_sgpr_kernarg_segment_ptr 1
		.amdhsa_user_sgpr_dispatch_id 0
		.amdhsa_user_sgpr_kernarg_preload_length 0
		.amdhsa_user_sgpr_kernarg_preload_offset 0
		.amdhsa_user_sgpr_private_segment_size 0
		.amdhsa_wavefront_size32 1
		.amdhsa_uses_dynamic_stack 0
		.amdhsa_enable_private_segment 0
		.amdhsa_system_sgpr_workgroup_id_x 1
		.amdhsa_system_sgpr_workgroup_id_y 0
		.amdhsa_system_sgpr_workgroup_id_z 0
		.amdhsa_system_sgpr_workgroup_info 0
		.amdhsa_system_vgpr_workitem_id 0
		.amdhsa_next_free_vgpr 36
		.amdhsa_next_free_sgpr 36
		.amdhsa_named_barrier_count 0
		.amdhsa_reserve_vcc 1
		.amdhsa_float_round_mode_32 0
		.amdhsa_float_round_mode_16_64 0
		.amdhsa_float_denorm_mode_32 3
		.amdhsa_float_denorm_mode_16_64 3
		.amdhsa_fp16_overflow 0
		.amdhsa_memory_ordered 1
		.amdhsa_forward_progress 1
		.amdhsa_inst_pref_size 47
		.amdhsa_round_robin_scheduling 0
		.amdhsa_exception_fp_ieee_invalid_op 0
		.amdhsa_exception_fp_denorm_src 0
		.amdhsa_exception_fp_ieee_div_zero 0
		.amdhsa_exception_fp_ieee_overflow 0
		.amdhsa_exception_fp_ieee_underflow 0
		.amdhsa_exception_fp_ieee_inexact 0
		.amdhsa_exception_int_div_zero 0
	.end_amdhsa_kernel
	.text
.Lfunc_end0:
	.size	_Z18sequence_aa_kernelbPKcS0_PKjS2_PsS3_S3_S3_S3_ssPKsS5_, .Lfunc_end0-_Z18sequence_aa_kernelbPKcS0_PKjS2_PsS3_S3_S3_S3_ssPKsS5_
                                        ; -- End function
	.set _Z18sequence_aa_kernelbPKcS0_PKjS2_PsS3_S3_S3_S3_ssPKsS5_.num_vgpr, 36
	.set _Z18sequence_aa_kernelbPKcS0_PKjS2_PsS3_S3_S3_S3_ssPKsS5_.num_agpr, 0
	.set _Z18sequence_aa_kernelbPKcS0_PKjS2_PsS3_S3_S3_S3_ssPKsS5_.numbered_sgpr, 36
	.set _Z18sequence_aa_kernelbPKcS0_PKjS2_PsS3_S3_S3_S3_ssPKsS5_.num_named_barrier, 0
	.set _Z18sequence_aa_kernelbPKcS0_PKjS2_PsS3_S3_S3_S3_ssPKsS5_.private_seg_size, 0
	.set _Z18sequence_aa_kernelbPKcS0_PKjS2_PsS3_S3_S3_S3_ssPKsS5_.uses_vcc, 1
	.set _Z18sequence_aa_kernelbPKcS0_PKjS2_PsS3_S3_S3_S3_ssPKsS5_.uses_flat_scratch, 0
	.set _Z18sequence_aa_kernelbPKcS0_PKjS2_PsS3_S3_S3_S3_ssPKsS5_.has_dyn_sized_stack, 0
	.set _Z18sequence_aa_kernelbPKcS0_PKjS2_PsS3_S3_S3_S3_ssPKsS5_.has_recursion, 0
	.set _Z18sequence_aa_kernelbPKcS0_PKjS2_PsS3_S3_S3_S3_ssPKsS5_.has_indirect_call, 0
	.section	.AMDGPU.csdata,"",@progbits
; Kernel info:
; codeLenInByte = 6012
; TotalNumSgprs: 38
; NumVgprs: 36
; ScratchSize: 0
; MemoryBound: 0
; FloatMode: 240
; IeeeMode: 1
; LDSByteSize: 7872 bytes/workgroup (compile time only)
; SGPRBlocks: 0
; VGPRBlocks: 2
; NumSGPRsForWavesPerEU: 38
; NumVGPRsForWavesPerEU: 36
; NamedBarCnt: 0
; Occupancy: 16
; WaveLimiterHint : 0
; COMPUTE_PGM_RSRC2:SCRATCH_EN: 0
; COMPUTE_PGM_RSRC2:USER_SGPR: 2
; COMPUTE_PGM_RSRC2:TRAP_HANDLER: 0
; COMPUTE_PGM_RSRC2:TGID_X_EN: 1
; COMPUTE_PGM_RSRC2:TGID_Y_EN: 0
; COMPUTE_PGM_RSRC2:TGID_Z_EN: 0
; COMPUTE_PGM_RSRC2:TIDIG_COMP_CNT: 0
	.text
	.p2alignl 7, 3214868480
	.fill 96, 4, 3214868480
	.section	.AMDGPU.gpr_maximums,"",@progbits
	.set amdgpu.max_num_vgpr, 0
	.set amdgpu.max_num_agpr, 0
	.set amdgpu.max_num_sgpr, 0
	.text
	.type	__hip_cuid_1b4d3247502fab0c,@object ; @__hip_cuid_1b4d3247502fab0c
	.section	.bss,"aw",@nobits
	.globl	__hip_cuid_1b4d3247502fab0c
__hip_cuid_1b4d3247502fab0c:
	.byte	0                               ; 0x0
	.size	__hip_cuid_1b4d3247502fab0c, 1

	.ident	"AMD clang version 22.0.0git (https://github.com/RadeonOpenCompute/llvm-project roc-7.2.4 26084 f58b06dce1f9c15707c5f808fd002e18c2accf7e)"
	.section	".note.GNU-stack","",@progbits
	.addrsig
	.addrsig_sym __hip_cuid_1b4d3247502fab0c
	.amdgpu_metadata
---
amdhsa.kernels:
  - .args:
      - .offset:         0
        .size:           1
        .value_kind:     by_value
      - .actual_access:  read_only
        .address_space:  global
        .offset:         8
        .size:           8
        .value_kind:     global_buffer
      - .actual_access:  read_only
        .address_space:  global
        .offset:         16
        .size:           8
        .value_kind:     global_buffer
      - .actual_access:  read_only
        .address_space:  global
        .offset:         24
        .size:           8
        .value_kind:     global_buffer
      - .actual_access:  read_only
        .address_space:  global
        .offset:         32
        .size:           8
        .value_kind:     global_buffer
      - .actual_access:  write_only
        .address_space:  global
        .offset:         40
        .size:           8
        .value_kind:     global_buffer
      - .address_space:  global
        .offset:         48
        .size:           8
        .value_kind:     global_buffer
      - .actual_access:  write_only
        .address_space:  global
        .offset:         56
        .size:           8
        .value_kind:     global_buffer
      - .address_space:  global
        .offset:         64
        .size:           8
        .value_kind:     global_buffer
      - .actual_access:  write_only
        .address_space:  global
        .offset:         72
        .size:           8
        .value_kind:     global_buffer
      - .offset:         80
        .size:           2
        .value_kind:     by_value
      - .offset:         82
        .size:           2
        .value_kind:     by_value
      - .actual_access:  read_only
        .address_space:  global
        .offset:         88
        .size:           8
        .value_kind:     global_buffer
      - .actual_access:  read_only
        .address_space:  global
        .offset:         96
        .size:           8
        .value_kind:     global_buffer
      - .offset:         104
        .size:           4
        .value_kind:     hidden_block_count_x
      - .offset:         108
        .size:           4
        .value_kind:     hidden_block_count_y
      - .offset:         112
        .size:           4
        .value_kind:     hidden_block_count_z
      - .offset:         116
        .size:           2
        .value_kind:     hidden_group_size_x
      - .offset:         118
        .size:           2
        .value_kind:     hidden_group_size_y
      - .offset:         120
        .size:           2
        .value_kind:     hidden_group_size_z
      - .offset:         122
        .size:           2
        .value_kind:     hidden_remainder_x
      - .offset:         124
        .size:           2
        .value_kind:     hidden_remainder_y
      - .offset:         126
        .size:           2
        .value_kind:     hidden_remainder_z
      - .offset:         144
        .size:           8
        .value_kind:     hidden_global_offset_x
      - .offset:         152
        .size:           8
        .value_kind:     hidden_global_offset_y
      - .offset:         160
        .size:           8
        .value_kind:     hidden_global_offset_z
      - .offset:         168
        .size:           2
        .value_kind:     hidden_grid_dims
      - .offset:         224
        .size:           4
        .value_kind:     hidden_dynamic_lds_size
    .group_segment_fixed_size: 7872
    .kernarg_segment_align: 8
    .kernarg_segment_size: 360
    .language:       OpenCL C
    .language_version:
      - 2
      - 0
    .max_flat_workgroup_size: 1024
    .name:           _Z18sequence_aa_kernelbPKcS0_PKjS2_PsS3_S3_S3_S3_ssPKsS5_
    .private_segment_fixed_size: 0
    .sgpr_count:     38
    .sgpr_spill_count: 0
    .symbol:         _Z18sequence_aa_kernelbPKcS0_PKjS2_PsS3_S3_S3_S3_ssPKsS5_.kd
    .uniform_work_group_size: 1
    .uses_dynamic_stack: false
    .vgpr_count:     36
    .vgpr_spill_count: 0
    .wavefront_size: 32
amdhsa.target:   amdgcn-amd-amdhsa--gfx1250
amdhsa.version:
  - 1
  - 2
...

	.end_amdgpu_metadata
